;; amdgpu-corpus repo=ROCm/rocFFT kind=compiled arch=gfx1201 opt=O3
	.text
	.amdgcn_target "amdgcn-amd-amdhsa--gfx1201"
	.amdhsa_code_object_version 6
	.protected	fft_rtc_back_len528_factors_4_4_3_11_wgs_48_tpt_48_halfLds_sp_ip_CI_unitstride_sbrr_dirReg ; -- Begin function fft_rtc_back_len528_factors_4_4_3_11_wgs_48_tpt_48_halfLds_sp_ip_CI_unitstride_sbrr_dirReg
	.globl	fft_rtc_back_len528_factors_4_4_3_11_wgs_48_tpt_48_halfLds_sp_ip_CI_unitstride_sbrr_dirReg
	.p2align	8
	.type	fft_rtc_back_len528_factors_4_4_3_11_wgs_48_tpt_48_halfLds_sp_ip_CI_unitstride_sbrr_dirReg,@function
fft_rtc_back_len528_factors_4_4_3_11_wgs_48_tpt_48_halfLds_sp_ip_CI_unitstride_sbrr_dirReg: ; @fft_rtc_back_len528_factors_4_4_3_11_wgs_48_tpt_48_halfLds_sp_ip_CI_unitstride_sbrr_dirReg
; %bb.0:
	s_clause 0x2
	s_load_b128 s[4:7], s[0:1], 0x0
	s_load_b64 s[8:9], s[0:1], 0x50
	s_load_b64 s[10:11], s[0:1], 0x18
	v_mul_u32_u24_e32 v1, 0x556, v0
	v_mov_b32_e32 v3, 0
	s_delay_alu instid0(VALU_DEP_2) | instskip(NEXT) | instid1(VALU_DEP_1)
	v_lshrrev_b32_e32 v1, 16, v1
	v_add_nc_u32_e32 v5, ttmp9, v1
	v_mov_b32_e32 v1, 0
	v_mov_b32_e32 v2, 0
	;; [unrolled: 1-line block ×3, first 2 shown]
	s_wait_kmcnt 0x0
	v_cmp_lt_u64_e64 s2, s[6:7], 2
	s_delay_alu instid0(VALU_DEP_1)
	s_and_b32 vcc_lo, exec_lo, s2
	s_cbranch_vccnz .LBB0_8
; %bb.1:
	s_load_b64 s[2:3], s[0:1], 0x10
	v_mov_b32_e32 v1, 0
	v_mov_b32_e32 v2, 0
	s_add_nc_u64 s[12:13], s[10:11], 8
	s_mov_b64 s[14:15], 1
	s_wait_kmcnt 0x0
	s_add_nc_u64 s[16:17], s[2:3], 8
	s_mov_b32 s3, 0
.LBB0_2:                                ; =>This Inner Loop Header: Depth=1
	s_load_b64 s[18:19], s[16:17], 0x0
                                        ; implicit-def: $vgpr8_vgpr9
	s_mov_b32 s2, exec_lo
	s_wait_kmcnt 0x0
	v_or_b32_e32 v4, s19, v6
	s_delay_alu instid0(VALU_DEP_1)
	v_cmpx_ne_u64_e32 0, v[3:4]
	s_wait_alu 0xfffe
	s_xor_b32 s20, exec_lo, s2
	s_cbranch_execz .LBB0_4
; %bb.3:                                ;   in Loop: Header=BB0_2 Depth=1
	s_cvt_f32_u32 s2, s18
	s_cvt_f32_u32 s21, s19
	s_sub_nc_u64 s[24:25], 0, s[18:19]
	s_wait_alu 0xfffe
	s_delay_alu instid0(SALU_CYCLE_1) | instskip(SKIP_1) | instid1(SALU_CYCLE_2)
	s_fmamk_f32 s2, s21, 0x4f800000, s2
	s_wait_alu 0xfffe
	v_s_rcp_f32 s2, s2
	s_delay_alu instid0(TRANS32_DEP_1) | instskip(SKIP_1) | instid1(SALU_CYCLE_2)
	s_mul_f32 s2, s2, 0x5f7ffffc
	s_wait_alu 0xfffe
	s_mul_f32 s21, s2, 0x2f800000
	s_wait_alu 0xfffe
	s_delay_alu instid0(SALU_CYCLE_2) | instskip(SKIP_1) | instid1(SALU_CYCLE_2)
	s_trunc_f32 s21, s21
	s_wait_alu 0xfffe
	s_fmamk_f32 s2, s21, 0xcf800000, s2
	s_cvt_u32_f32 s23, s21
	s_wait_alu 0xfffe
	s_delay_alu instid0(SALU_CYCLE_1) | instskip(SKIP_1) | instid1(SALU_CYCLE_2)
	s_cvt_u32_f32 s22, s2
	s_wait_alu 0xfffe
	s_mul_u64 s[26:27], s[24:25], s[22:23]
	s_wait_alu 0xfffe
	s_mul_hi_u32 s29, s22, s27
	s_mul_i32 s28, s22, s27
	s_mul_hi_u32 s2, s22, s26
	s_mul_i32 s30, s23, s26
	s_wait_alu 0xfffe
	s_add_nc_u64 s[28:29], s[2:3], s[28:29]
	s_mul_hi_u32 s21, s23, s26
	s_mul_hi_u32 s31, s23, s27
	s_add_co_u32 s2, s28, s30
	s_wait_alu 0xfffe
	s_add_co_ci_u32 s2, s29, s21
	s_mul_i32 s26, s23, s27
	s_add_co_ci_u32 s27, s31, 0
	s_wait_alu 0xfffe
	s_add_nc_u64 s[26:27], s[2:3], s[26:27]
	s_wait_alu 0xfffe
	v_add_co_u32 v4, s2, s22, s26
	s_delay_alu instid0(VALU_DEP_1) | instskip(SKIP_1) | instid1(VALU_DEP_1)
	s_cmp_lg_u32 s2, 0
	s_add_co_ci_u32 s23, s23, s27
	v_readfirstlane_b32 s22, v4
	s_wait_alu 0xfffe
	s_delay_alu instid0(VALU_DEP_1)
	s_mul_u64 s[24:25], s[24:25], s[22:23]
	s_wait_alu 0xfffe
	s_mul_hi_u32 s27, s22, s25
	s_mul_i32 s26, s22, s25
	s_mul_hi_u32 s2, s22, s24
	s_mul_i32 s28, s23, s24
	s_wait_alu 0xfffe
	s_add_nc_u64 s[26:27], s[2:3], s[26:27]
	s_mul_hi_u32 s21, s23, s24
	s_mul_hi_u32 s22, s23, s25
	s_wait_alu 0xfffe
	s_add_co_u32 s2, s26, s28
	s_add_co_ci_u32 s2, s27, s21
	s_mul_i32 s24, s23, s25
	s_add_co_ci_u32 s25, s22, 0
	s_wait_alu 0xfffe
	s_add_nc_u64 s[24:25], s[2:3], s[24:25]
	s_wait_alu 0xfffe
	v_add_co_u32 v4, s2, v4, s24
	s_delay_alu instid0(VALU_DEP_1) | instskip(SKIP_1) | instid1(VALU_DEP_1)
	s_cmp_lg_u32 s2, 0
	s_add_co_ci_u32 s2, s23, s25
	v_mul_hi_u32 v13, v5, v4
	s_wait_alu 0xfffe
	v_mad_co_u64_u32 v[7:8], null, v5, s2, 0
	v_mad_co_u64_u32 v[9:10], null, v6, v4, 0
	;; [unrolled: 1-line block ×3, first 2 shown]
	s_delay_alu instid0(VALU_DEP_3) | instskip(SKIP_1) | instid1(VALU_DEP_4)
	v_add_co_u32 v4, vcc_lo, v13, v7
	s_wait_alu 0xfffd
	v_add_co_ci_u32_e32 v7, vcc_lo, 0, v8, vcc_lo
	s_delay_alu instid0(VALU_DEP_2) | instskip(SKIP_1) | instid1(VALU_DEP_2)
	v_add_co_u32 v4, vcc_lo, v4, v9
	s_wait_alu 0xfffd
	v_add_co_ci_u32_e32 v4, vcc_lo, v7, v10, vcc_lo
	s_wait_alu 0xfffd
	v_add_co_ci_u32_e32 v7, vcc_lo, 0, v12, vcc_lo
	s_delay_alu instid0(VALU_DEP_2) | instskip(SKIP_1) | instid1(VALU_DEP_2)
	v_add_co_u32 v4, vcc_lo, v4, v11
	s_wait_alu 0xfffd
	v_add_co_ci_u32_e32 v9, vcc_lo, 0, v7, vcc_lo
	s_delay_alu instid0(VALU_DEP_2) | instskip(SKIP_1) | instid1(VALU_DEP_3)
	v_mul_lo_u32 v10, s19, v4
	v_mad_co_u64_u32 v[7:8], null, s18, v4, 0
	v_mul_lo_u32 v11, s18, v9
	s_delay_alu instid0(VALU_DEP_2) | instskip(NEXT) | instid1(VALU_DEP_2)
	v_sub_co_u32 v7, vcc_lo, v5, v7
	v_add3_u32 v8, v8, v11, v10
	s_delay_alu instid0(VALU_DEP_1) | instskip(SKIP_1) | instid1(VALU_DEP_1)
	v_sub_nc_u32_e32 v10, v6, v8
	s_wait_alu 0xfffd
	v_subrev_co_ci_u32_e64 v10, s2, s19, v10, vcc_lo
	v_add_co_u32 v11, s2, v4, 2
	s_wait_alu 0xf1ff
	v_add_co_ci_u32_e64 v12, s2, 0, v9, s2
	v_sub_co_u32 v13, s2, v7, s18
	v_sub_co_ci_u32_e32 v8, vcc_lo, v6, v8, vcc_lo
	s_wait_alu 0xf1ff
	v_subrev_co_ci_u32_e64 v10, s2, 0, v10, s2
	s_delay_alu instid0(VALU_DEP_3) | instskip(NEXT) | instid1(VALU_DEP_3)
	v_cmp_le_u32_e32 vcc_lo, s18, v13
	v_cmp_eq_u32_e64 s2, s19, v8
	s_wait_alu 0xfffd
	v_cndmask_b32_e64 v13, 0, -1, vcc_lo
	v_cmp_le_u32_e32 vcc_lo, s19, v10
	s_wait_alu 0xfffd
	v_cndmask_b32_e64 v14, 0, -1, vcc_lo
	v_cmp_le_u32_e32 vcc_lo, s18, v7
	;; [unrolled: 3-line block ×3, first 2 shown]
	s_wait_alu 0xfffd
	v_cndmask_b32_e64 v15, 0, -1, vcc_lo
	v_cmp_eq_u32_e32 vcc_lo, s19, v10
	s_wait_alu 0xf1ff
	s_delay_alu instid0(VALU_DEP_2)
	v_cndmask_b32_e64 v7, v15, v7, s2
	s_wait_alu 0xfffd
	v_cndmask_b32_e32 v10, v14, v13, vcc_lo
	v_add_co_u32 v13, vcc_lo, v4, 1
	s_wait_alu 0xfffd
	v_add_co_ci_u32_e32 v14, vcc_lo, 0, v9, vcc_lo
	s_delay_alu instid0(VALU_DEP_3) | instskip(SKIP_1) | instid1(VALU_DEP_2)
	v_cmp_ne_u32_e32 vcc_lo, 0, v10
	s_wait_alu 0xfffd
	v_cndmask_b32_e32 v8, v14, v12, vcc_lo
	v_cndmask_b32_e32 v10, v13, v11, vcc_lo
	v_cmp_ne_u32_e32 vcc_lo, 0, v7
	s_wait_alu 0xfffd
	s_delay_alu instid0(VALU_DEP_2)
	v_dual_cndmask_b32 v9, v9, v8 :: v_dual_cndmask_b32 v8, v4, v10
.LBB0_4:                                ;   in Loop: Header=BB0_2 Depth=1
	s_wait_alu 0xfffe
	s_and_not1_saveexec_b32 s2, s20
	s_cbranch_execz .LBB0_6
; %bb.5:                                ;   in Loop: Header=BB0_2 Depth=1
	v_cvt_f32_u32_e32 v4, s18
	s_sub_co_i32 s20, 0, s18
	s_delay_alu instid0(VALU_DEP_1) | instskip(NEXT) | instid1(TRANS32_DEP_1)
	v_rcp_iflag_f32_e32 v4, v4
	v_mul_f32_e32 v4, 0x4f7ffffe, v4
	s_delay_alu instid0(VALU_DEP_1) | instskip(SKIP_1) | instid1(VALU_DEP_1)
	v_cvt_u32_f32_e32 v4, v4
	s_wait_alu 0xfffe
	v_mul_lo_u32 v7, s20, v4
	s_delay_alu instid0(VALU_DEP_1) | instskip(NEXT) | instid1(VALU_DEP_1)
	v_mul_hi_u32 v7, v4, v7
	v_add_nc_u32_e32 v4, v4, v7
	s_delay_alu instid0(VALU_DEP_1) | instskip(NEXT) | instid1(VALU_DEP_1)
	v_mul_hi_u32 v4, v5, v4
	v_mul_lo_u32 v7, v4, s18
	v_add_nc_u32_e32 v8, 1, v4
	s_delay_alu instid0(VALU_DEP_2) | instskip(NEXT) | instid1(VALU_DEP_1)
	v_sub_nc_u32_e32 v7, v5, v7
	v_subrev_nc_u32_e32 v9, s18, v7
	v_cmp_le_u32_e32 vcc_lo, s18, v7
	s_wait_alu 0xfffd
	s_delay_alu instid0(VALU_DEP_2) | instskip(SKIP_1) | instid1(VALU_DEP_2)
	v_cndmask_b32_e32 v7, v7, v9, vcc_lo
	v_dual_mov_b32 v9, v3 :: v_dual_cndmask_b32 v4, v4, v8
	v_cmp_le_u32_e32 vcc_lo, s18, v7
	s_delay_alu instid0(VALU_DEP_2) | instskip(SKIP_1) | instid1(VALU_DEP_1)
	v_add_nc_u32_e32 v8, 1, v4
	s_wait_alu 0xfffd
	v_cndmask_b32_e32 v8, v4, v8, vcc_lo
.LBB0_6:                                ;   in Loop: Header=BB0_2 Depth=1
	s_wait_alu 0xfffe
	s_or_b32 exec_lo, exec_lo, s2
	s_load_b64 s[20:21], s[12:13], 0x0
	v_mul_lo_u32 v4, v9, s18
	v_mul_lo_u32 v7, v8, s19
	v_mad_co_u64_u32 v[10:11], null, v8, s18, 0
	s_add_nc_u64 s[14:15], s[14:15], 1
	s_add_nc_u64 s[12:13], s[12:13], 8
	s_wait_alu 0xfffe
	v_cmp_ge_u64_e64 s2, s[14:15], s[6:7]
	s_add_nc_u64 s[16:17], s[16:17], 8
	s_delay_alu instid0(VALU_DEP_2) | instskip(NEXT) | instid1(VALU_DEP_3)
	v_add3_u32 v4, v11, v7, v4
	v_sub_co_u32 v5, vcc_lo, v5, v10
	s_wait_alu 0xfffd
	s_delay_alu instid0(VALU_DEP_2) | instskip(SKIP_3) | instid1(VALU_DEP_2)
	v_sub_co_ci_u32_e32 v4, vcc_lo, v6, v4, vcc_lo
	s_and_b32 vcc_lo, exec_lo, s2
	s_wait_kmcnt 0x0
	v_mul_lo_u32 v6, s21, v5
	v_mul_lo_u32 v4, s20, v4
	v_mad_co_u64_u32 v[1:2], null, s20, v5, v[1:2]
	s_delay_alu instid0(VALU_DEP_1)
	v_add3_u32 v2, v6, v2, v4
	s_wait_alu 0xfffe
	s_cbranch_vccnz .LBB0_9
; %bb.7:                                ;   in Loop: Header=BB0_2 Depth=1
	v_dual_mov_b32 v5, v8 :: v_dual_mov_b32 v6, v9
	s_branch .LBB0_2
.LBB0_8:
	v_dual_mov_b32 v9, v6 :: v_dual_mov_b32 v8, v5
.LBB0_9:
	s_lshl_b64 s[2:3], s[6:7], 3
	v_mul_hi_u32 v5, 0x5555556, v0
	s_wait_alu 0xfffe
	s_add_nc_u64 s[2:3], s[10:11], s[2:3]
	v_mov_b32_e32 v22, 0
	s_load_b64 s[2:3], s[2:3], 0x0
	s_load_b64 s[0:1], s[0:1], 0x20
                                        ; implicit-def: $vgpr12
                                        ; implicit-def: $vgpr26
                                        ; implicit-def: $vgpr24
                                        ; implicit-def: $vgpr20
                                        ; implicit-def: $vgpr16
                                        ; implicit-def: $vgpr18
                                        ; implicit-def: $vgpr28
                                        ; implicit-def: $vgpr33
                                        ; implicit-def: $vgpr14
                                        ; implicit-def: $vgpr10
	s_delay_alu instid0(VALU_DEP_2)
	v_mul_u32_u24_e32 v5, 48, v5
	s_wait_kmcnt 0x0
	v_mul_lo_u32 v6, s2, v9
	v_mul_lo_u32 v7, s3, v8
	v_mad_co_u64_u32 v[3:4], null, s2, v8, v[1:2]
	v_cmp_gt_u64_e32 vcc_lo, s[0:1], v[8:9]
	v_dual_mov_b32 v2, 0 :: v_dual_mov_b32 v1, 0
	v_mov_b32_e32 v8, 0
	s_delay_alu instid0(VALU_DEP_4) | instskip(SKIP_2) | instid1(VALU_DEP_3)
	v_add3_u32 v4, v7, v4, v6
	v_sub_nc_u32_e32 v7, v0, v5
	v_mov_b32_e32 v6, 0
	v_lshlrev_b64_e32 v[4:5], 3, v[3:4]
	s_and_saveexec_b32 s1, vcc_lo
	s_cbranch_execz .LBB0_13
; %bb.10:
	v_mov_b32_e32 v8, 0
	s_delay_alu instid0(VALU_DEP_2) | instskip(SKIP_2) | instid1(VALU_DEP_3)
	v_add_co_u32 v2, s0, s8, v4
	s_wait_alu 0xf1ff
	v_add_co_ci_u32_e64 v3, s0, s9, v5, s0
	v_lshlrev_b64_e32 v[0:1], 3, v[7:8]
	v_mov_b32_e32 v22, v8
	s_mov_b32 s2, exec_lo
                                        ; implicit-def: $vgpr13
                                        ; implicit-def: $vgpr32
	s_delay_alu instid0(VALU_DEP_2) | instskip(SKIP_1) | instid1(VALU_DEP_3)
	v_add_co_u32 v29, s0, v2, v0
	s_wait_alu 0xf1ff
	v_add_co_ci_u32_e64 v30, s0, v3, v1, s0
	v_dual_mov_b32 v1, v8 :: v_dual_mov_b32 v2, v8
	s_clause 0x7
	global_load_b64 v[11:12], v[29:30], off
	global_load_b64 v[23:24], v[29:30], off offset:2112
	global_load_b64 v[17:18], v[29:30], off offset:1440
	;; [unrolled: 1-line block ×7, first 2 shown]
	v_cmpx_gt_u32_e32 36, v7
	s_cbranch_execz .LBB0_12
; %bb.11:
	s_clause 0x3
	global_load_b64 v[21:22], v[29:30], off offset:1824
	global_load_b64 v[1:2], v[29:30], off offset:768
	global_load_b64 v[32:33], v[29:30], off offset:2880
	global_load_b64 v[13:14], v[29:30], off offset:3936
	s_wait_loadcnt 0x3
	v_mov_b32_e32 v8, v21
.LBB0_12:
	s_wait_alu 0xfffe
	s_or_b32 exec_lo, exec_lo, s2
	v_mov_b32_e32 v6, v7
.LBB0_13:
	s_wait_alu 0xfffe
	s_or_b32 exec_lo, exec_lo, s1
	s_wait_loadcnt 0x0
	v_dual_sub_f32 v13, v8, v13 :: v_dual_sub_f32 v0, v25, v19
	v_sub_f32_e32 v19, v26, v20
	v_sub_f32_e32 v27, v15, v27
	v_add_nc_u32_e32 v35, 48, v7
	s_delay_alu instid0(VALU_DEP_4) | instskip(SKIP_3) | instid1(VALU_DEP_3)
	v_fma_f32 v8, v8, 2.0, -v13
	v_sub_f32_e32 v21, v11, v23
	v_dual_sub_f32 v23, v18, v10 :: v_dual_add_nc_u32 v36, 0x60, v7
	v_cmp_gt_u32_e64 s0, 36, v7
	v_fma_f32 v20, v11, 2.0, -v21
	v_fma_f32 v11, v25, 2.0, -v0
	v_sub_f32_e32 v3, v17, v9
	v_dual_sub_f32 v25, v1, v32 :: v_dual_add_f32 v30, v27, v23
	v_fma_f32 v9, v15, 2.0, -v27
	s_delay_alu instid0(VALU_DEP_4) | instskip(NEXT) | instid1(VALU_DEP_4)
	v_sub_f32_e32 v10, v20, v11
	v_fma_f32 v15, v17, 2.0, -v3
	s_delay_alu instid0(VALU_DEP_4)
	v_fma_f32 v1, v1, 2.0, -v25
	v_sub_f32_e32 v17, v22, v14
	v_fma_f32 v32, v27, 2.0, -v30
	v_fma_f32 v20, v20, 2.0, -v10
	v_sub_f32_e32 v29, v9, v15
	v_sub_f32_e32 v8, v1, v8
	v_add_f32_e32 v11, v21, v19
	v_lshl_add_u32 v27, v7, 4, 0
	s_delay_alu instid0(VALU_DEP_4) | instskip(SKIP_1) | instid1(VALU_DEP_4)
	v_fma_f32 v31, v9, 2.0, -v29
	v_add_f32_e32 v9, v25, v17
	v_fma_f32 v21, v21, 2.0, -v11
	v_fma_f32 v14, v1, 2.0, -v8
	v_lshl_add_u32 v1, v36, 4, 0
	s_delay_alu instid0(VALU_DEP_4)
	v_fma_f32 v15, v25, 2.0, -v9
	v_lshl_add_u32 v25, v35, 4, 0
	ds_store_2addr_b64 v27, v[20:21], v[10:11] offset1:1
	ds_store_2addr_b64 v25, v[31:32], v[29:30] offset1:1
	s_and_saveexec_b32 s1, s0
	s_cbranch_execz .LBB0_15
; %bb.14:
	ds_store_2addr_b64 v1, v[14:15], v[8:9] offset1:1
.LBB0_15:
	s_wait_alu 0xfffe
	s_or_b32 exec_lo, exec_lo, s1
	v_mad_i32_i24 v10, v7, -12, v27
	global_wb scope:SCOPE_SE
	s_wait_dscnt 0x0
	s_barrier_signal -1
	s_barrier_wait -1
	global_inv scope:SCOPE_SE
	v_add_nc_u32_e32 v29, 0x400, v10
	v_mul_i32_i24_e32 v34, -12, v7
	ds_load_2addr_b32 v[20:21], v10 offset1:48
	ds_load_2addr_b32 v[31:32], v10 offset0:132 offset1:180
	ds_load_2addr_b32 v[10:11], v29 offset0:8 offset1:56
	;; [unrolled: 1-line block ×3, first 2 shown]
	v_add_nc_u32_e32 v34, v27, v34
	s_and_saveexec_b32 s1, s0
	s_cbranch_execz .LBB0_17
; %bb.16:
	s_delay_alu instid0(VALU_DEP_1)
	v_add_nc_u32_e32 v8, 0x400, v34
	ds_load_2addr_b32 v[14:15], v34 offset0:96 offset1:228
	ds_load_2addr_b32 v[8:9], v8 offset0:104 offset1:236
.LBB0_17:
	s_wait_alu 0xfffe
	s_or_b32 exec_lo, exec_lo, s1
	v_dual_sub_f32 v24, v12, v24 :: v_dual_sub_f32 v33, v2, v33
	v_sub_f32_e32 v28, v16, v28
	v_fma_f32 v26, v26, 2.0, -v19
	v_fma_f32 v23, v18, 2.0, -v23
	s_delay_alu instid0(VALU_DEP_4)
	v_fma_f32 v12, v12, 2.0, -v24
	v_fma_f32 v22, v22, 2.0, -v17
	v_sub_f32_e32 v17, v33, v13
	v_fma_f32 v37, v16, 2.0, -v28
	v_sub_f32_e32 v19, v24, v0
	;; [unrolled: 2-line block ×3, first 2 shown]
	v_sub_f32_e32 v3, v28, v3
	v_sub_f32_e32 v2, v37, v23
	v_fma_f32 v23, v24, 2.0, -v19
	v_sub_f32_e32 v16, v0, v22
	v_fma_f32 v22, v12, 2.0, -v18
	v_fma_f32 v13, v33, 2.0, -v17
	;; [unrolled: 1-line block ×5, first 2 shown]
	global_wb scope:SCOPE_SE
	s_wait_dscnt 0x0
	s_barrier_signal -1
	s_barrier_wait -1
	global_inv scope:SCOPE_SE
	ds_store_2addr_b64 v27, v[22:23], v[18:19] offset1:1
	ds_store_2addr_b64 v25, v[37:38], v[2:3] offset1:1
	s_and_saveexec_b32 s1, s0
	s_cbranch_execz .LBB0_19
; %bb.18:
	ds_store_2addr_b64 v1, v[12:13], v[16:17] offset1:1
.LBB0_19:
	s_wait_alu 0xfffe
	s_or_b32 exec_lo, exec_lo, s1
	v_add_nc_u32_e32 v0, 0x400, v34
	global_wb scope:SCOPE_SE
	s_wait_dscnt 0x0
	s_barrier_signal -1
	s_barrier_wait -1
	global_inv scope:SCOPE_SE
	ds_load_2addr_b32 v[18:19], v34 offset1:48
	ds_load_2addr_b32 v[26:27], v34 offset0:132 offset1:180
	ds_load_2addr_b32 v[24:25], v0 offset0:8 offset1:56
	;; [unrolled: 1-line block ×3, first 2 shown]
	v_lshlrev_b32_e32 v37, 2, v7
	v_lshlrev_b32_e32 v28, 2, v35
	s_and_saveexec_b32 s1, s0
	s_cbranch_execz .LBB0_21
; %bb.20:
	ds_load_2addr_b32 v[12:13], v34 offset0:96 offset1:228
	ds_load_2addr_b32 v[16:17], v0 offset0:104 offset1:236
.LBB0_21:
	s_wait_alu 0xfffe
	s_or_b32 exec_lo, exec_lo, s1
	v_and_b32_e32 v33, 3, v7
	s_delay_alu instid0(VALU_DEP_1) | instskip(SKIP_1) | instid1(VALU_DEP_2)
	v_mul_u32_u24_e32 v0, 3, v33
	v_and_or_b32 v28, 0x1f0, v28, v33
	v_lshlrev_b32_e32 v38, 3, v0
	s_clause 0x1
	global_load_b128 v[0:3], v38, s[4:5]
	global_load_b64 v[41:42], v38, s[4:5] offset:16
	v_and_or_b32 v38, 0xf0, v37, v33
	v_lshlrev_b32_e32 v37, 2, v36
	global_wb scope:SCOPE_SE
	s_wait_loadcnt_dscnt 0x0
	s_barrier_signal -1
	s_barrier_wait -1
	v_lshl_add_u32 v39, v38, 2, 0
	v_lshl_add_u32 v38, v28, 2, 0
	global_inv scope:SCOPE_SE
	v_mul_f32_e32 v40, v31, v1
	v_dual_mul_f32 v28, v26, v1 :: v_dual_mul_f32 v43, v24, v3
	v_dual_mul_f32 v44, v22, v42 :: v_dual_mul_f32 v47, v32, v1
	;; [unrolled: 1-line block ×6, first 2 shown]
	v_dual_mul_f32 v53, v17, v42 :: v_dual_fmac_f32 v28, v31, v0
	s_delay_alu instid0(VALU_DEP_4)
	v_dual_mul_f32 v42, v9, v42 :: v_dual_fmac_f32 v49, v30, v41
	v_fma_f32 v40, v26, v0, -v40
	v_dual_fmac_f32 v43, v10, v2 :: v_dual_fmac_f32 v44, v29, v41
	v_fma_f32 v22, v22, v41, -v45
	v_fmac_f32_e32 v48, v11, v2
	v_dual_fmac_f32 v46, v32, v0 :: v_dual_fmac_f32 v53, v9, v41
	v_fma_f32 v32, v27, v0, -v47
	v_fma_f32 v23, v23, v41, -v50
	v_dual_fmac_f32 v51, v15, v0 :: v_dual_fmac_f32 v52, v8, v2
	v_fma_f32 v31, v13, v0, -v1
	v_fma_f32 v0, v17, v41, -v42
	v_sub_f32_e32 v1, v20, v43
	v_dual_sub_f32 v43, v40, v22 :: v_dual_sub_f32 v22, v21, v48
	v_sub_f32_e32 v9, v28, v44
	v_dual_sub_f32 v17, v46, v49 :: v_dual_sub_f32 v42, v32, v23
	v_sub_f32_e32 v23, v14, v52
	v_sub_f32_e32 v15, v51, v53
	;; [unrolled: 1-line block ×3, first 2 shown]
	v_fma_f32 v0, v20, 2.0, -v1
	v_add_f32_e32 v26, v1, v43
	v_fma_f32 v20, v28, 2.0, -v9
	v_add_f32_e32 v28, v22, v42
	v_fma_f32 v21, v21, 2.0, -v22
	v_fma_f32 v27, v46, 2.0, -v17
	;; [unrolled: 1-line block ×4, first 2 shown]
	v_dual_sub_f32 v20, v0, v20 :: v_dual_add_f32 v29, v23, v41
	s_delay_alu instid0(VALU_DEP_4) | instskip(SKIP_1) | instid1(VALU_DEP_4)
	v_sub_f32_e32 v27, v21, v27
	v_fma_f32 v30, v1, 2.0, -v26
	v_sub_f32_e32 v1, v13, v14
	s_delay_alu instid0(VALU_DEP_4)
	v_fma_f32 v44, v0, 2.0, -v20
	v_fma_f32 v0, v23, 2.0, -v29
	;; [unrolled: 1-line block ×4, first 2 shown]
	ds_store_2addr_b32 v39, v20, v26 offset0:8 offset1:12
	ds_store_2addr_b32 v39, v44, v30 offset1:4
	ds_store_2addr_b32 v38, v21, v22 offset1:4
	ds_store_2addr_b32 v38, v27, v28 offset0:8 offset1:12
	s_and_saveexec_b32 s1, s0
	s_cbranch_execz .LBB0_23
; %bb.22:
	v_and_or_b32 v14, 0x3f0, v37, v33
	v_fma_f32 v13, v13, 2.0, -v1
	s_delay_alu instid0(VALU_DEP_2)
	v_lshl_add_u32 v14, v14, 2, 0
	ds_store_2addr_b32 v14, v13, v0 offset1:4
	ds_store_2addr_b32 v14, v1, v29 offset0:8 offset1:12
.LBB0_23:
	s_wait_alu 0xfffe
	s_or_b32 exec_lo, exec_lo, s1
	v_add_nc_u32_e32 v20, 0x400, v34
	v_lshl_add_u32 v28, v7, 2, 0
	global_wb scope:SCOPE_SE
	s_wait_dscnt 0x0
	s_barrier_signal -1
	s_barrier_wait -1
	global_inv scope:SCOPE_SE
	ds_load_2addr_b32 v[13:14], v34 offset1:48
	ds_load_2addr_b32 v[26:27], v34 offset0:176 offset1:224
	ds_load_2addr_b32 v[22:23], v20 offset0:16 offset1:96
	;; [unrolled: 1-line block ×3, first 2 shown]
	ds_load_b32 v30, v28 offset:384
	v_cmp_gt_u32_e64 s1, 32, v7
	s_delay_alu instid0(VALU_DEP_1)
	s_and_saveexec_b32 s2, s1
	s_cbranch_execz .LBB0_25
; %bb.24:
	v_add_nc_u32_e32 v0, 0x200, v28
	ds_load_2addr_b32 v[0:1], v0 offset0:16 offset1:192
	ds_load_b32 v29, v34 offset:1984
.LBB0_25:
	s_wait_alu 0xfffe
	s_or_b32 exec_lo, exec_lo, s2
	v_mul_f32_e32 v10, v10, v3
	v_fma_f32 v32, v32, 2.0, -v42
	global_wb scope:SCOPE_SE
	s_wait_dscnt 0x0
	s_barrier_signal -1
	s_barrier_wait -1
	v_fma_f32 v10, v24, v2, -v10
	v_mul_f32_e32 v11, v11, v3
	v_mul_f32_e32 v3, v8, v3
	v_fma_f32 v8, v40, 2.0, -v43
	v_fma_f32 v24, v31, 2.0, -v41
	v_sub_f32_e32 v10, v18, v10
	v_fma_f32 v11, v25, v2, -v11
	v_fma_f32 v2, v16, v2, -v3
	global_inv scope:SCOPE_SE
	v_sub_f32_e32 v9, v10, v9
	v_dual_sub_f32 v3, v19, v11 :: v_dual_sub_f32 v2, v12, v2
	v_fma_f32 v11, v18, 2.0, -v10
	s_delay_alu instid0(VALU_DEP_3) | instskip(NEXT) | instid1(VALU_DEP_3)
	v_fma_f32 v10, v10, 2.0, -v9
	v_fma_f32 v16, v19, 2.0, -v3
	v_sub_f32_e32 v17, v3, v17
	s_delay_alu instid0(VALU_DEP_4) | instskip(SKIP_1) | instid1(VALU_DEP_4)
	v_sub_f32_e32 v18, v11, v8
	v_fma_f32 v8, v12, 2.0, -v2
	v_dual_sub_f32 v12, v2, v15 :: v_dual_sub_f32 v19, v16, v32
	s_delay_alu instid0(VALU_DEP_4) | instskip(NEXT) | instid1(VALU_DEP_4)
	v_fma_f32 v15, v3, 2.0, -v17
	v_fma_f32 v11, v11, 2.0, -v18
	s_delay_alu instid0(VALU_DEP_4) | instskip(NEXT) | instid1(VALU_DEP_4)
	v_sub_f32_e32 v3, v8, v24
	v_fma_f32 v2, v2, 2.0, -v12
	v_fma_f32 v16, v16, 2.0, -v19
	ds_store_2addr_b32 v39, v11, v10 offset1:4
	ds_store_2addr_b32 v39, v18, v9 offset0:8 offset1:12
	ds_store_2addr_b32 v38, v16, v15 offset1:4
	ds_store_2addr_b32 v38, v19, v17 offset0:8 offset1:12
	s_and_saveexec_b32 s2, s0
	s_cbranch_execz .LBB0_27
; %bb.26:
	v_and_or_b32 v9, 0x3f0, v37, v33
	v_fma_f32 v8, v8, 2.0, -v3
	s_delay_alu instid0(VALU_DEP_2)
	v_lshl_add_u32 v9, v9, 2, 0
	ds_store_2addr_b32 v9, v8, v2 offset1:4
	ds_store_2addr_b32 v9, v3, v12 offset0:8 offset1:12
.LBB0_27:
	s_wait_alu 0xfffe
	s_or_b32 exec_lo, exec_lo, s2
	v_add_nc_u32_e32 v8, 0x400, v34
	global_wb scope:SCOPE_SE
	s_wait_dscnt 0x0
	s_barrier_signal -1
	s_barrier_wait -1
	global_inv scope:SCOPE_SE
	ds_load_2addr_b32 v[15:16], v34 offset1:48
	ds_load_2addr_b32 v[17:18], v34 offset0:176 offset1:224
	ds_load_2addr_b32 v[10:11], v8 offset0:16 offset1:96
	;; [unrolled: 1-line block ×3, first 2 shown]
	ds_load_b32 v19, v28 offset:384
	s_and_saveexec_b32 s0, s1
	s_cbranch_execz .LBB0_29
; %bb.28:
	v_add_nc_u32_e32 v2, 0x200, v28
	ds_load_2addr_b32 v[2:3], v2 offset0:16 offset1:192
	ds_load_b32 v12, v34 offset:1984
.LBB0_29:
	s_wait_alu 0xfffe
	s_or_b32 exec_lo, exec_lo, s0
	v_and_b32_e32 v24, 15, v7
	v_lshrrev_b32_e32 v31, 4, v35
	v_lshrrev_b32_e32 v32, 4, v36
	s_delay_alu instid0(VALU_DEP_3) | instskip(NEXT) | instid1(VALU_DEP_3)
	v_lshlrev_b32_e32 v25, 4, v24
	v_mul_u32_u24_e32 v31, 48, v31
	s_delay_alu instid0(VALU_DEP_3)
	v_mul_u32_u24_e32 v32, 48, v32
	global_load_b128 v[43:46], v25, s[4:5] offset:96
	v_lshrrev_b32_e32 v25, 4, v7
	v_add_nc_u32_e32 v33, 0x90, v7
	global_wb scope:SCOPE_SE
	s_wait_loadcnt_dscnt 0x0
	s_barrier_signal -1
	s_barrier_wait -1
	v_mul_u32_u24_e32 v35, 48, v25
	global_inv scope:SCOPE_SE
	v_dual_mul_f32 v48, v23, v46 :: v_dual_mul_f32 v41, v17, v44
	v_or_b32_e32 v31, v31, v24
	v_mul_f32_e32 v42, v11, v46
	v_lshrrev_b32_e32 v25, 4, v33
	v_or_b32_e32 v33, v35, v24
	v_or_b32_e32 v32, v32, v24
	v_dual_mul_f32 v47, v26, v44 :: v_dual_mul_f32 v40, v8, v46
	v_dual_mul_f32 v39, v18, v44 :: v_dual_mul_f32 v50, v20, v46
	;; [unrolled: 1-line block ×4, first 2 shown]
	v_lshl_add_u32 v35, v31, 2, 0
	v_mul_f32_e32 v51, v22, v44
	v_mul_f32_e32 v31, v3, v44
	v_dual_mul_f32 v44, v1, v44 :: v_dual_fmac_f32 v41, v26, v43
	v_dual_fmac_f32 v42, v23, v45 :: v_dual_fmac_f32 v37, v22, v43
	v_lshl_add_u32 v36, v33, 2, 0
	v_lshl_add_u32 v33, v32, 2, 0
	v_mul_f32_e32 v32, v12, v46
	v_dual_mul_f32 v46, v29, v46 :: v_dual_fmac_f32 v39, v27, v43
	v_fmac_f32_e32 v40, v20, v45
	v_fma_f32 v26, v17, v43, -v47
	v_fma_f32 v11, v11, v45, -v48
	v_fmac_f32_e32 v38, v21, v45
	v_fma_f32 v20, v8, v45, -v50
	v_dual_add_f32 v8, v41, v42 :: v_dual_add_f32 v27, v30, v37
	v_fma_f32 v17, v18, v43, -v49
	v_fma_f32 v22, v10, v43, -v51
	;; [unrolled: 1-line block ×3, first 2 shown]
	v_fmac_f32_e32 v31, v1, v43
	v_fma_f32 v18, v3, v43, -v44
	v_fma_f32 v3, v12, v45, -v46
	v_add_f32_e32 v12, v39, v40
	v_fmac_f32_e32 v32, v29, v45
	v_dual_add_f32 v1, v13, v41 :: v_dual_add_f32 v10, v14, v39
	v_sub_f32_e32 v9, v26, v11
	v_add_f32_e32 v29, v37, v38
	v_fma_f32 v8, -0.5, v8, v13
	v_sub_f32_e32 v23, v17, v20
	v_dual_sub_f32 v43, v22, v21 :: v_dual_fmac_f32 v14, -0.5, v12
	v_dual_add_f32 v10, v10, v40 :: v_dual_add_f32 v1, v1, v42
	v_fmac_f32_e32 v30, -0.5, v29
	v_fmamk_f32 v13, v9, 0xbf5db3d7, v8
	v_fmac_f32_e32 v8, 0x3f5db3d7, v9
	v_add_f32_e32 v12, v27, v38
	v_fmamk_f32 v9, v23, 0xbf5db3d7, v14
	v_fmac_f32_e32 v14, 0x3f5db3d7, v23
	v_fmamk_f32 v23, v43, 0xbf5db3d7, v30
	v_fmac_f32_e32 v30, 0x3f5db3d7, v43
	ds_store_2addr_b32 v36, v1, v13 offset1:16
	ds_store_b32 v36, v8 offset:128
	ds_store_2addr_b32 v35, v10, v9 offset1:16
	ds_store_b32 v35, v14 offset:128
	;; [unrolled: 2-line block ×3, first 2 shown]
	s_and_saveexec_b32 s0, s1
	s_cbranch_execz .LBB0_31
; %bb.30:
	v_mul_u32_u24_e32 v1, 48, v25
	v_dual_add_f32 v8, v31, v32 :: v_dual_sub_f32 v9, v18, v3
	v_add_f32_e32 v10, v0, v31
	s_delay_alu instid0(VALU_DEP_3) | instskip(NEXT) | instid1(VALU_DEP_3)
	v_or_b32_e32 v1, v1, v24
	v_fma_f32 v0, -0.5, v8, v0
	s_delay_alu instid0(VALU_DEP_3) | instskip(NEXT) | instid1(VALU_DEP_3)
	v_add_f32_e32 v8, v10, v32
	v_lshl_add_u32 v1, v1, 2, 0
	s_delay_alu instid0(VALU_DEP_3)
	v_fmamk_f32 v10, v9, 0x3f5db3d7, v0
	v_fmac_f32_e32 v0, 0xbf5db3d7, v9
	ds_store_2addr_b32 v1, v8, v0 offset1:16
	ds_store_b32 v1, v10 offset:128
.LBB0_31:
	s_wait_alu 0xfffe
	s_or_b32 exec_lo, exec_lo, s0
	v_dual_add_f32 v0, v26, v11 :: v_dual_add_f32 v1, v15, v26
	v_dual_sub_f32 v8, v41, v42 :: v_dual_sub_f32 v27, v39, v40
	v_dual_add_f32 v9, v17, v20 :: v_dual_add_f32 v26, v16, v17
	s_delay_alu instid0(VALU_DEP_3) | instskip(NEXT) | instid1(VALU_DEP_4)
	v_fma_f32 v23, -0.5, v0, v15
	v_add_f32_e32 v29, v1, v11
	global_wb scope:SCOPE_SE
	s_wait_dscnt 0x0
	v_fmac_f32_e32 v16, -0.5, v9
	v_dual_add_f32 v39, v22, v21 :: v_dual_fmamk_f32 v30, v8, 0x3f5db3d7, v23
	v_add_nc_u32_e32 v14, 0x400, v34
	v_dual_fmac_f32 v23, 0xbf5db3d7, v8 :: v_dual_add_f32 v22, v19, v22
	s_barrier_signal -1
	s_barrier_wait -1
	global_inv scope:SCOPE_SE
	v_fmac_f32_e32 v19, -0.5, v39
	ds_load_2addr_b32 v[0:1], v34 offset1:48
	ds_load_2addr_b32 v[12:13], v28 offset0:96 offset1:144
	ds_load_2addr_b32 v[8:9], v34 offset0:192 offset1:240
	;; [unrolled: 1-line block ×4, first 2 shown]
	ds_load_b32 v17, v34 offset:1920
	v_dual_sub_f32 v37, v37, v38 :: v_dual_add_f32 v20, v26, v20
	v_dual_fmamk_f32 v26, v27, 0x3f5db3d7, v16 :: v_dual_add_f32 v21, v22, v21
	v_fmac_f32_e32 v16, 0xbf5db3d7, v27
	s_delay_alu instid0(VALU_DEP_3)
	v_fmamk_f32 v22, v37, 0x3f5db3d7, v19
	v_fmac_f32_e32 v19, 0xbf5db3d7, v37
	global_wb scope:SCOPE_SE
	s_wait_dscnt 0x0
	s_barrier_signal -1
	s_barrier_wait -1
	global_inv scope:SCOPE_SE
	ds_store_2addr_b32 v36, v29, v30 offset1:16
	ds_store_b32 v36, v23 offset:128
	ds_store_2addr_b32 v35, v20, v26 offset1:16
	ds_store_b32 v35, v16 offset:128
	;; [unrolled: 2-line block ×3, first 2 shown]
	s_and_saveexec_b32 s0, s1
	s_cbranch_execz .LBB0_33
; %bb.32:
	v_add_f32_e32 v16, v18, v3
	v_mul_u32_u24_e32 v19, 48, v25
	v_add_f32_e32 v18, v2, v18
	v_sub_f32_e32 v20, v31, v32
	s_delay_alu instid0(VALU_DEP_4) | instskip(NEXT) | instid1(VALU_DEP_4)
	v_fmac_f32_e32 v2, -0.5, v16
	v_or_b32_e32 v16, v19, v24
	s_delay_alu instid0(VALU_DEP_2) | instskip(NEXT) | instid1(VALU_DEP_2)
	v_dual_add_f32 v3, v18, v3 :: v_dual_fmamk_f32 v18, v20, 0x3f5db3d7, v2
	v_lshl_add_u32 v16, v16, 2, 0
	v_fmamk_f32 v2, v20, 0xbf5db3d7, v2
	ds_store_2addr_b32 v16, v3, v18 offset1:16
	ds_store_b32 v16, v2 offset:128
.LBB0_33:
	s_wait_alu 0xfffe
	s_or_b32 exec_lo, exec_lo, s0
	global_wb scope:SCOPE_SE
	s_wait_dscnt 0x0
	s_barrier_signal -1
	s_barrier_wait -1
	global_inv scope:SCOPE_SE
	s_and_saveexec_b32 s0, vcc_lo
	s_cbranch_execz .LBB0_35
; %bb.34:
	v_mul_u32_u24_e32 v2, 10, v7
	v_add_co_u32 v4, vcc_lo, s8, v4
	s_wait_alu 0xfffd
	v_add_co_ci_u32_e32 v5, vcc_lo, s9, v5, vcc_lo
	s_delay_alu instid0(VALU_DEP_3)
	v_dual_mov_b32 v7, 0 :: v_dual_lshlrev_b32 v2, 3, v2
	s_clause 0x4
	global_load_b128 v[18:21], v2, s[4:5] offset:352
	global_load_b128 v[22:25], v2, s[4:5] offset:416
	;; [unrolled: 1-line block ×5, first 2 shown]
	v_lshlrev_b64_e32 v[6:7], 3, v[6:7]
	ds_load_2addr_b32 v[2:3], v34 offset1:48
	ds_load_b32 v16, v34 offset:1920
	ds_load_2addr_b32 v[26:27], v28 offset0:96 offset1:144
	v_add_nc_u32_e32 v28, 0x400, v34
	ds_load_2addr_b32 v[33:34], v34 offset0:192 offset1:240
	v_add_co_u32 v4, vcc_lo, v4, v6
	s_wait_alu 0xfffd
	v_add_co_ci_u32_e32 v5, vcc_lo, v5, v7, vcc_lo
	s_wait_loadcnt 0x4
	v_mul_f32_e32 v7, v1, v18
	s_wait_loadcnt 0x3
	v_mul_f32_e32 v6, v17, v24
	v_mul_f32_e32 v17, v17, v25
	ds_load_2addr_b32 v[43:44], v28 offset0:128 offset1:176
	ds_load_2addr_b32 v[45:46], v28 offset0:32 offset1:80
	v_dual_mul_f32 v28, v1, v19 :: v_dual_mul_f32 v47, v12, v20
	s_wait_loadcnt 0x2
	v_dual_mul_f32 v48, v15, v22 :: v_dual_mul_f32 v49, v13, v29
	v_dual_mul_f32 v15, v15, v23 :: v_dual_mul_f32 v12, v12, v21
	s_wait_loadcnt 0x1
	v_dual_mul_f32 v50, v14, v37 :: v_dual_mul_f32 v13, v13, v30
	v_dual_mul_f32 v14, v14, v38 :: v_dual_mul_f32 v51, v8, v31
	v_mul_f32_e32 v52, v11, v35
	s_wait_loadcnt 0x0
	v_dual_mul_f32 v11, v11, v36 :: v_dual_mul_f32 v54, v10, v41
	v_dual_mul_f32 v8, v8, v32 :: v_dual_mul_f32 v53, v9, v39
	s_wait_dscnt 0x5
	v_dual_mul_f32 v10, v10, v42 :: v_dual_fmac_f32 v7, v3, v19
	s_wait_dscnt 0x4
	v_dual_mul_f32 v9, v9, v40 :: v_dual_fmac_f32 v6, v16, v25
	s_wait_dscnt 0x3
	v_fmac_f32_e32 v49, v27, v30
	v_fma_f32 v1, v16, v24, -v17
	v_fma_f32 v3, v3, v18, -v28
	s_wait_dscnt 0x1
	v_dual_fmac_f32 v47, v26, v21 :: v_dual_fmac_f32 v48, v44, v23
	v_fma_f32 v21, v44, v22, -v15
	v_fma_f32 v12, v26, v20, -v12
	v_dual_fmac_f32 v50, v43, v38 :: v_dual_fmac_f32 v51, v33, v32
	v_fma_f32 v19, v43, v37, -v14
	v_fma_f32 v13, v27, v29, -v13
	s_wait_dscnt 0x0
	v_dual_fmac_f32 v52, v46, v36 :: v_dual_add_f32 v15, v3, v1
	v_fma_f32 v11, v46, v35, -v11
	v_fma_f32 v8, v33, v31, -v8
	v_dual_fmac_f32 v53, v34, v40 :: v_dual_fmac_f32 v54, v45, v42
	v_fma_f32 v10, v45, v41, -v10
	v_fma_f32 v9, v34, v39, -v9
	v_dual_sub_f32 v14, v7, v6 :: v_dual_add_f32 v17, v12, v21
	v_dual_sub_f32 v18, v49, v50 :: v_dual_sub_f32 v27, v3, v1
	v_dual_add_f32 v20, v13, v19 :: v_dual_sub_f32 v29, v12, v21
	v_dual_add_f32 v3, v3, v2 :: v_dual_sub_f32 v30, v13, v19
	v_dual_sub_f32 v16, v47, v48 :: v_dual_add_f32 v23, v8, v11
	v_dual_sub_f32 v22, v51, v52 :: v_dual_add_f32 v25, v9, v10
	v_sub_f32_e32 v24, v53, v54
	s_delay_alu instid0(VALU_DEP_3)
	v_dual_add_f32 v26, v7, v6 :: v_dual_mul_f32 v37, 0xbf68dda4, v16
	v_dual_add_f32 v7, v0, v7 :: v_dual_sub_f32 v34, v9, v10
	v_dual_mul_f32 v41, 0xbf0a6770, v27 :: v_dual_mul_f32 v36, 0xbf0a6770, v14
	v_dual_add_f32 v3, v3, v12 :: v_dual_mul_f32 v42, 0xbf68dda4, v29
	v_dual_mul_f32 v43, 0xbf68dda4, v14 :: v_dual_mul_f32 v56, 0xbf68dda4, v27
	v_dual_mul_f32 v57, 0xbf7d64f0, v14 :: v_dual_mul_f32 v62, 0xbf7d64f0, v27
	;; [unrolled: 1-line block ×3, first 2 shown]
	v_dual_add_f32 v28, v47, v48 :: v_dual_add_f32 v31, v49, v50
	v_dual_sub_f32 v32, v8, v11 :: v_dual_add_f32 v33, v51, v52
	v_dual_mul_f32 v39, 0xbf4178ce, v22 :: v_dual_mul_f32 v44, 0xbf4178ce, v16
	v_dual_mul_f32 v46, 0x3f7d64f0, v22 :: v_dual_add_f32 v7, v7, v47
	v_dual_mul_f32 v64, 0x3f0a6770, v16 :: v_dual_mul_f32 v69, 0x3f0a6770, v29
	s_delay_alu instid0(VALU_DEP_3)
	v_dual_mul_f32 v70, 0xbf27a4f4, v15 :: v_dual_fmamk_f32 v89, v23, 0xbf27a4f4, v39
	v_fmamk_f32 v86, v15, 0x3f575c64, v36
	v_mul_f32_e32 v27, 0xbf4178ce, v27
	v_fma_f32 v91, 0x3f575c64, v26, -v41
	v_fmamk_f32 v92, v15, 0x3ed4b147, v43
	v_fmamk_f32 v98, v15, 0xbe11bafb, v57
	;; [unrolled: 1-line block ×3, first 2 shown]
	v_fma_f32 v63, 0xbf75a155, v15, -v63
	v_fma_f32 v57, 0xbe11bafb, v15, -v57
	;; [unrolled: 1-line block ×4, first 2 shown]
	v_add_f32_e32 v3, v3, v13
	v_fma_f32 v97, 0x3ed4b147, v26, -v56
	v_dual_add_f32 v35, v53, v54 :: v_dual_mul_f32 v40, 0xbe903f40, v24
	v_dual_mul_f32 v38, 0xbf7d64f0, v18 :: v_dual_mul_f32 v67, 0xbf7d64f0, v24
	v_dual_mul_f32 v45, 0x3e903f40, v18 :: v_dual_mul_f32 v58, 0x3e903f40, v16
	;; [unrolled: 1-line block ×5, first 2 shown]
	v_mul_f32_e32 v61, 0xbf4178ce, v24
	v_dual_mul_f32 v66, 0x3f68dda4, v22 :: v_dual_add_f32 v7, v7, v49
	v_dual_mul_f32 v71, 0xbe11bafb, v17 :: v_dual_fmamk_f32 v88, v20, 0xbe11bafb, v38
	v_dual_mul_f32 v72, 0x3f575c64, v20 :: v_dual_fmac_f32 v41, 0x3f575c64, v26
	v_dual_mul_f32 v73, 0xbf75a155, v23 :: v_dual_fmamk_f32 v90, v25, 0xbf75a155, v40
	v_dual_mul_f32 v74, 0x3ed4b147, v25 :: v_dual_fmamk_f32 v87, v17, 0x3ed4b147, v37
	v_dual_mul_f32 v12, 0x3e903f40, v29 :: v_dual_add_f32 v63, v2, v63
	v_mul_f32_e32 v77, 0x3f68dda4, v30
	v_dual_mul_f32 v78, 0x3e903f40, v30 :: v_dual_add_f32 v57, v2, v57
	v_mul_f32_e32 v80, 0x3f7d64f0, v32
	v_dual_fmamk_f32 v36, v14, 0x3f4178ce, v70 :: v_dual_add_f32 v97, v0, v97
	v_mul_f32_e32 v75, 0xbf4178ce, v30
	v_dual_fmac_f32 v70, 0xbf4178ce, v14 :: v_dual_mul_f32 v79, 0xbf4178ce, v32
	v_dual_mul_f32 v32, 0xbe903f40, v32 :: v_dual_mul_f32 v83, 0xbe903f40, v34
	v_fma_f32 v14, 0xbe11bafb, v26, -v62
	v_fma_f32 v102, 0xbf75a155, v26, -v68
	v_fmac_f32_e32 v68, 0xbf75a155, v26
	v_dual_mul_f32 v76, 0xbf7d64f0, v30 :: v_dual_add_f32 v101, v2, v101
	v_dual_mul_f32 v30, 0xbf0a6770, v30 :: v_dual_add_f32 v43, v2, v43
	v_fmac_f32_e32 v62, 0xbe11bafb, v26
	v_fmac_f32_e32 v56, 0x3ed4b147, v26
	v_add_f32_e32 v86, v2, v86
	v_fmamk_f32 v103, v26, 0xbf27a4f4, v27
	v_add_f32_e32 v15, v2, v15
	v_dual_mul_f32 v65, 0xbf4178ce, v18 :: v_dual_add_f32 v92, v2, v92
	v_add_f32_e32 v91, v0, v91
	v_dual_mul_f32 v47, 0xbf4178ce, v29 :: v_dual_add_f32 v98, v2, v98
	v_mul_f32_e32 v29, 0x3f7d64f0, v29
	v_dual_mul_f32 v85, 0xbf4178ce, v34 :: v_dual_add_f32 v68, v0, v68
	v_dual_fmamk_f32 v93, v17, 0xbf27a4f4, v44 :: v_dual_add_f32 v14, v0, v14
	v_dual_fmamk_f32 v94, v20, 0xbf75a155, v45 :: v_dual_fmamk_f32 v99, v17, 0xbf75a155, v58
	v_dual_fmamk_f32 v95, v23, 0xbe11bafb, v46 :: v_dual_add_f32 v102, v0, v102
	v_fmamk_f32 v96, v25, 0x3f575c64, v55
	v_dual_fmamk_f32 v100, v20, 0x3ed4b147, v59 :: v_dual_add_f32 v3, v3, v8
	v_fma_f32 v26, 0xbf27a4f4, v26, -v27
	v_fmamk_f32 v27, v23, 0x3f575c64, v60
	v_fmamk_f32 v105, v17, 0x3f575c64, v64
	v_fma_f32 v64, 0x3f575c64, v17, -v64
	v_fma_f32 v58, 0xbf75a155, v17, -v58
	;; [unrolled: 1-line block ×4, first 2 shown]
	v_dual_fmamk_f32 v37, v20, 0xbf27a4f4, v65 :: v_dual_add_f32 v8, v86, v87
	v_fma_f32 v65, 0xbf27a4f4, v20, -v65
	v_fma_f32 v59, 0x3ed4b147, v20, -v59
	;; [unrolled: 1-line block ×4, first 2 shown]
	v_dual_fmamk_f32 v38, v23, 0x3ed4b147, v66 :: v_dual_add_f32 v41, v0, v41
	v_fma_f32 v66, 0x3ed4b147, v23, -v66
	v_fma_f32 v60, 0x3f575c64, v23, -v60
	v_fma_f32 v46, 0xbe11bafb, v23, -v46
	v_fma_f32 v23, 0xbf27a4f4, v23, -v39
	v_fmamk_f32 v39, v25, 0xbe11bafb, v67
	v_fma_f32 v67, 0xbe11bafb, v25, -v67
	v_fma_f32 v55, 0x3f575c64, v25, -v55
	;; [unrolled: 1-line block ×3, first 2 shown]
	v_fmac_f32_e32 v12, 0xbf75a155, v28
	v_fma_f32 v107, 0xbf27a4f4, v28, -v47
	v_fmac_f32_e32 v47, 0xbf27a4f4, v28
	v_fma_f32 v108, 0x3ed4b147, v28, -v42
	v_add_f32_e32 v14, v14, v106
	v_fmac_f32_e32 v42, 0x3ed4b147, v28
	v_fmamk_f32 v109, v28, 0xbe11bafb, v29
	v_fma_f32 v49, 0xbf75a155, v31, -v78
	v_dual_fmac_f32 v78, 0xbf75a155, v31 :: v_dual_add_f32 v63, v63, v64
	v_fma_f32 v110, 0xbe11bafb, v31, -v76
	v_fmac_f32_e32 v76, 0xbe11bafb, v31
	v_fma_f32 v112, 0x3f575c64, v33, -v81
	v_fmac_f32_e32 v81, 0x3f575c64, v33
	;; [unrolled: 2-line block ×3, first 2 shown]
	v_add_f32_e32 v36, v2, v36
	v_fma_f32 v13, 0xbf27a4f4, v31, -v75
	v_add_f32_e32 v2, v2, v70
	v_fma_f32 v70, 0xbf27a4f4, v33, -v79
	v_dual_fmamk_f32 v114, v33, 0xbf75a155, v32 :: v_dual_add_f32 v43, v43, v44
	v_fma_f32 v32, 0xbf75a155, v33, -v32
	v_add_f32_e32 v62, v0, v62
	v_dual_fmamk_f32 v104, v25, 0xbf27a4f4, v61 :: v_dual_add_f32 v103, v0, v103
	v_fma_f32 v61, 0xbf27a4f4, v25, -v61
	v_fma_f32 v25, 0xbf75a155, v25, -v40
	v_fmamk_f32 v40, v16, 0xbf7d64f0, v71
	v_fmac_f32_e32 v71, 0x3f7d64f0, v16
	v_dual_fmamk_f32 v16, v18, 0x3f0a6770, v72 :: v_dual_add_f32 v7, v7, v51
	v_fmac_f32_e32 v72, 0xbf0a6770, v18
	v_dual_fmamk_f32 v18, v22, 0x3e903f40, v73 :: v_dual_add_f32 v51, v92, v93
	v_dual_fmac_f32 v73, 0xbe903f40, v22 :: v_dual_add_f32 v86, v97, v107
	v_dual_fmamk_f32 v22, v24, 0xbf68dda4, v74 :: v_dual_add_f32 v87, v98, v99
	v_fmac_f32_e32 v74, 0x3f68dda4, v24
	v_fma_f32 v24, 0x3f575c64, v28, -v69
	v_fmac_f32_e32 v69, 0x3f575c64, v28
	v_fma_f32 v28, 0xbe11bafb, v28, -v29
	;; [unrolled: 2-line block ×3, first 2 shown]
	v_dual_add_f32 v24, v102, v24 :: v_dual_fmac_f32 v77, 0x3ed4b147, v31
	v_dual_fmamk_f32 v111, v31, 0x3f575c64, v30 :: v_dual_add_f32 v64, v68, v69
	v_fma_f32 v30, 0x3f575c64, v31, -v30
	v_fma_f32 v31, 0x3ed4b147, v33, -v82
	v_dual_fmac_f32 v82, 0x3ed4b147, v33 :: v_dual_add_f32 v57, v57, v58
	v_fmac_f32_e32 v79, 0xbf27a4f4, v33
	v_dual_mul_f32 v33, 0xbf7d64f0, v34 :: v_dual_add_f32 v36, v36, v40
	v_dual_mul_f32 v34, 0x3f68dda4, v34 :: v_dual_add_f32 v15, v15, v17
	v_add_f32_e32 v56, v0, v56
	v_add_f32_e32 v0, v0, v26
	s_delay_alu instid0(VALU_DEP_4)
	v_fma_f32 v26, 0xbe11bafb, v35, -v33
	v_fmac_f32_e32 v33, 0xbe11bafb, v35
	v_fma_f32 v115, 0xbf27a4f4, v35, -v85
	v_dual_fmac_f32 v85, 0xbf27a4f4, v35 :: v_dual_add_f32 v40, v103, v109
	v_fma_f32 v116, 0x3f575c64, v35, -v84
	v_fmac_f32_e32 v84, 0x3f575c64, v35
	v_fma_f32 v117, 0xbf75a155, v35, -v83
	v_fmac_f32_e32 v83, 0xbf75a155, v35
	v_fmamk_f32 v118, v35, 0x3ed4b147, v34
	v_fma_f32 v34, 0x3ed4b147, v35, -v34
	v_add_f32_e32 v35, v91, v108
	v_add_f32_e32 v91, v101, v105
	v_dual_add_f32 v17, v41, v42 :: v_dual_add_f32 v12, v62, v12
	v_dual_add_f32 v3, v3, v9 :: v_dual_add_f32 v44, v56, v47
	;; [unrolled: 1-line block ×7, first 2 shown]
	v_add_f32_e32 v29, v91, v37
	v_dual_add_f32 v24, v63, v65 :: v_dual_add_f32 v37, v64, v75
	v_dual_add_f32 v16, v36, v16 :: v_dual_add_f32 v3, v3, v10
	;; [unrolled: 1-line block ×3, first 2 shown]
	v_add_f32_e32 v40, v57, v59
	v_dual_add_f32 v42, v43, v45 :: v_dual_add_f32 v9, v9, v70
	v_dual_add_f32 v7, v7, v54 :: v_dual_add_f32 v2, v2, v72
	;; [unrolled: 1-line block ×3, first 2 shown]
	v_add_f32_e32 v43, v44, v78
	v_dual_add_f32 v0, v0, v30 :: v_dual_add_f32 v27, v41, v27
	v_dual_add_f32 v8, v8, v89 :: v_dual_add_f32 v13, v13, v31
	v_add_f32_e32 v10, v28, v95
	v_dual_add_f32 v20, v35, v113 :: v_dual_add_f32 v35, v42, v46
	v_dual_add_f32 v14, v14, v112 :: v_dual_add_f32 v31, v12, v81
	;; [unrolled: 1-line block ×3, first 2 shown]
	v_add_f32_e32 v24, v24, v66
	v_add_f32_e32 v29, v37, v82
	v_dual_add_f32 v37, v17, v79 :: v_dual_add_f32 v30, v40, v60
	v_add_f32_e32 v38, v11, v3
	v_add_f32_e32 v40, v52, v7
	v_dual_add_f32 v16, v16, v18 :: v_dual_add_f32 v41, v2, v73
	v_add_f32_e32 v18, v36, v114
	v_dual_add_f32 v36, v43, v80 :: v_dual_add_f32 v3, v8, v90
	v_dual_add_f32 v2, v9, v117 :: v_dual_add_f32 v7, v20, v116
	v_add_f32_e32 v9, v14, v115
	v_dual_add_f32 v11, v13, v26 :: v_dual_add_f32 v14, v24, v67
	;; [unrolled: 3-line block ×3, first 2 shown]
	v_add_f32_e32 v12, v28, v39
	v_add_f32_e32 v16, v16, v22
	v_dual_add_f32 v22, v23, v25 :: v_dual_add_f32 v25, v21, v24
	v_add_f32_e32 v26, v48, v26
	v_dual_add_f32 v18, v30, v61 :: v_dual_add_f32 v23, v0, v34
	;; [unrolled: 2-line block ×3, first 2 shown]
	v_dual_add_f32 v8, v10, v96 :: v_dual_add_f32 v17, v31, v85
	v_dual_add_f32 v10, v27, v104 :: v_dual_add_f32 v21, v37, v83
	;; [unrolled: 1-line block ×3, first 2 shown]
	s_clause 0xa
	global_store_b64 v[4:5], v[15:16], off offset:1536
	global_store_b64 v[4:5], v[13:14], off offset:1920
	;; [unrolled: 1-line block ×7, first 2 shown]
	global_store_b64 v[4:5], v[0:1], off
	global_store_b64 v[4:5], v[9:10], off offset:3072
	global_store_b64 v[4:5], v[7:8], off offset:3456
	;; [unrolled: 1-line block ×3, first 2 shown]
.LBB0_35:
	s_nop 0
	s_sendmsg sendmsg(MSG_DEALLOC_VGPRS)
	s_endpgm
	.section	.rodata,"a",@progbits
	.p2align	6, 0x0
	.amdhsa_kernel fft_rtc_back_len528_factors_4_4_3_11_wgs_48_tpt_48_halfLds_sp_ip_CI_unitstride_sbrr_dirReg
		.amdhsa_group_segment_fixed_size 0
		.amdhsa_private_segment_fixed_size 0
		.amdhsa_kernarg_size 88
		.amdhsa_user_sgpr_count 2
		.amdhsa_user_sgpr_dispatch_ptr 0
		.amdhsa_user_sgpr_queue_ptr 0
		.amdhsa_user_sgpr_kernarg_segment_ptr 1
		.amdhsa_user_sgpr_dispatch_id 0
		.amdhsa_user_sgpr_private_segment_size 0
		.amdhsa_wavefront_size32 1
		.amdhsa_uses_dynamic_stack 0
		.amdhsa_enable_private_segment 0
		.amdhsa_system_sgpr_workgroup_id_x 1
		.amdhsa_system_sgpr_workgroup_id_y 0
		.amdhsa_system_sgpr_workgroup_id_z 0
		.amdhsa_system_sgpr_workgroup_info 0
		.amdhsa_system_vgpr_workitem_id 0
		.amdhsa_next_free_vgpr 119
		.amdhsa_next_free_sgpr 32
		.amdhsa_reserve_vcc 1
		.amdhsa_float_round_mode_32 0
		.amdhsa_float_round_mode_16_64 0
		.amdhsa_float_denorm_mode_32 3
		.amdhsa_float_denorm_mode_16_64 3
		.amdhsa_fp16_overflow 0
		.amdhsa_workgroup_processor_mode 1
		.amdhsa_memory_ordered 1
		.amdhsa_forward_progress 0
		.amdhsa_round_robin_scheduling 0
		.amdhsa_exception_fp_ieee_invalid_op 0
		.amdhsa_exception_fp_denorm_src 0
		.amdhsa_exception_fp_ieee_div_zero 0
		.amdhsa_exception_fp_ieee_overflow 0
		.amdhsa_exception_fp_ieee_underflow 0
		.amdhsa_exception_fp_ieee_inexact 0
		.amdhsa_exception_int_div_zero 0
	.end_amdhsa_kernel
	.text
.Lfunc_end0:
	.size	fft_rtc_back_len528_factors_4_4_3_11_wgs_48_tpt_48_halfLds_sp_ip_CI_unitstride_sbrr_dirReg, .Lfunc_end0-fft_rtc_back_len528_factors_4_4_3_11_wgs_48_tpt_48_halfLds_sp_ip_CI_unitstride_sbrr_dirReg
                                        ; -- End function
	.section	.AMDGPU.csdata,"",@progbits
; Kernel info:
; codeLenInByte = 6804
; NumSgprs: 34
; NumVgprs: 119
; ScratchSize: 0
; MemoryBound: 0
; FloatMode: 240
; IeeeMode: 1
; LDSByteSize: 0 bytes/workgroup (compile time only)
; SGPRBlocks: 4
; VGPRBlocks: 14
; NumSGPRsForWavesPerEU: 34
; NumVGPRsForWavesPerEU: 119
; Occupancy: 12
; WaveLimiterHint : 1
; COMPUTE_PGM_RSRC2:SCRATCH_EN: 0
; COMPUTE_PGM_RSRC2:USER_SGPR: 2
; COMPUTE_PGM_RSRC2:TRAP_HANDLER: 0
; COMPUTE_PGM_RSRC2:TGID_X_EN: 1
; COMPUTE_PGM_RSRC2:TGID_Y_EN: 0
; COMPUTE_PGM_RSRC2:TGID_Z_EN: 0
; COMPUTE_PGM_RSRC2:TIDIG_COMP_CNT: 0
	.text
	.p2alignl 7, 3214868480
	.fill 96, 4, 3214868480
	.type	__hip_cuid_6ce4ad1447ac45cd,@object ; @__hip_cuid_6ce4ad1447ac45cd
	.section	.bss,"aw",@nobits
	.globl	__hip_cuid_6ce4ad1447ac45cd
__hip_cuid_6ce4ad1447ac45cd:
	.byte	0                               ; 0x0
	.size	__hip_cuid_6ce4ad1447ac45cd, 1

	.ident	"AMD clang version 19.0.0git (https://github.com/RadeonOpenCompute/llvm-project roc-6.4.0 25133 c7fe45cf4b819c5991fe208aaa96edf142730f1d)"
	.section	".note.GNU-stack","",@progbits
	.addrsig
	.addrsig_sym __hip_cuid_6ce4ad1447ac45cd
	.amdgpu_metadata
---
amdhsa.kernels:
  - .args:
      - .actual_access:  read_only
        .address_space:  global
        .offset:         0
        .size:           8
        .value_kind:     global_buffer
      - .offset:         8
        .size:           8
        .value_kind:     by_value
      - .actual_access:  read_only
        .address_space:  global
        .offset:         16
        .size:           8
        .value_kind:     global_buffer
      - .actual_access:  read_only
        .address_space:  global
        .offset:         24
        .size:           8
        .value_kind:     global_buffer
      - .offset:         32
        .size:           8
        .value_kind:     by_value
      - .actual_access:  read_only
        .address_space:  global
        .offset:         40
        .size:           8
        .value_kind:     global_buffer
      - .actual_access:  read_only
        .address_space:  global
        .offset:         48
        .size:           8
        .value_kind:     global_buffer
      - .offset:         56
        .size:           4
        .value_kind:     by_value
      - .actual_access:  read_only
        .address_space:  global
        .offset:         64
        .size:           8
        .value_kind:     global_buffer
      - .actual_access:  read_only
        .address_space:  global
        .offset:         72
        .size:           8
        .value_kind:     global_buffer
      - .address_space:  global
        .offset:         80
        .size:           8
        .value_kind:     global_buffer
    .group_segment_fixed_size: 0
    .kernarg_segment_align: 8
    .kernarg_segment_size: 88
    .language:       OpenCL C
    .language_version:
      - 2
      - 0
    .max_flat_workgroup_size: 48
    .name:           fft_rtc_back_len528_factors_4_4_3_11_wgs_48_tpt_48_halfLds_sp_ip_CI_unitstride_sbrr_dirReg
    .private_segment_fixed_size: 0
    .sgpr_count:     34
    .sgpr_spill_count: 0
    .symbol:         fft_rtc_back_len528_factors_4_4_3_11_wgs_48_tpt_48_halfLds_sp_ip_CI_unitstride_sbrr_dirReg.kd
    .uniform_work_group_size: 1
    .uses_dynamic_stack: false
    .vgpr_count:     119
    .vgpr_spill_count: 0
    .wavefront_size: 32
    .workgroup_processor_mode: 1
amdhsa.target:   amdgcn-amd-amdhsa--gfx1201
amdhsa.version:
  - 1
  - 2
...

	.end_amdgpu_metadata
